;; amdgpu-corpus repo=tuanlda78202/gpt-oss-amd kind=compiled arch=gfx1250 opt=O3
	.amdgcn_target "amdgcn-amd-amdhsa--gfx1250"
	.amdhsa_code_object_version 6
	.section	.text._Z16split_qkv_kernelILi4EEvPKfPfPvS3_iiiiiPKiiS5_xiiPKxS5_S5_,"axG",@progbits,_Z16split_qkv_kernelILi4EEvPKfPfPvS3_iiiiiPKiiS5_xiiPKxS5_S5_,comdat
	.protected	_Z16split_qkv_kernelILi4EEvPKfPfPvS3_iiiiiPKiiS5_xiiPKxS5_S5_ ; -- Begin function _Z16split_qkv_kernelILi4EEvPKfPfPvS3_iiiiiPKiiS5_xiiPKxS5_S5_
	.globl	_Z16split_qkv_kernelILi4EEvPKfPfPvS3_iiiiiPKiiS5_xiiPKxS5_S5_
	.p2align	8
	.type	_Z16split_qkv_kernelILi4EEvPKfPfPvS3_iiiiiPKiiS5_xiiPKxS5_S5_,@function
_Z16split_qkv_kernelILi4EEvPKfPfPvS3_iiiiiPKiiS5_xiiPKxS5_S5_: ; @_Z16split_qkv_kernelILi4EEvPKfPfPvS3_iiiiiPKiiS5_xiiPKxS5_S5_
; %bb.0:
	s_load_b128 s[4:7], s[0:1], 0x20
	s_bfe_u32 s2, ttmp6, 0x40010
	s_bfe_u32 s3, ttmp6, 0x40004
	s_add_co_i32 s2, s2, 1
	s_getreg_b32 s9, hwreg(HW_REG_IB_STS2, 6, 4)
	s_mul_i32 s2, ttmp7, s2
	s_delay_alu instid0(SALU_CYCLE_1)
	s_add_co_i32 s3, s3, s2
	s_cmp_eq_u32 s9, 0
	s_cselect_b32 s2, ttmp7, s3
	s_wait_kmcnt 0x0
	s_cmp_ge_i32 s2, s4
	s_cbranch_scc1 .LBB0_25
; %bb.1:
	s_clause 0x3
	s_load_b32 s12, s[0:1], 0x30
	s_load_b128 s[20:23], s[0:1], 0x68
	s_load_b64 s[10:11], s[0:1], 0x38
	s_load_b64 s[16:17], s[0:1], 0x0
	s_ashr_i32 s3, s2, 31
	s_load_b32 s4, s[0:1], 0x84
	s_wait_kmcnt 0x0
	s_ashr_i32 s13, s12, 31
	s_delay_alu instid0(SALU_CYCLE_1) | instskip(NEXT) | instid1(SALU_CYCLE_1)
	s_lshl_b64 s[14:15], s[12:13], 2
	s_add_nc_u64 s[18:19], s[20:21], s[14:15]
	s_add_nc_u64 s[20:21], s[22:23], s[14:15]
	s_lshl_b64 s[14:15], s[2:3], 2
	s_load_b32 s22, s[20:21], 0x0
	s_wait_xcnt 0x0
	s_add_nc_u64 s[20:21], s[10:11], s[14:15]
	s_load_b32 s8, s[18:19], 0x0
	s_load_b32 s10, s[20:21], 0x0
	s_wait_kmcnt 0x0
	s_cmp_eq_u32 s22, 0
	s_cbranch_scc1 .LBB0_3
; %bb.2:
	s_abs_i32 s11, s8
	s_abs_i32 s20, s10
	s_cvt_f32_u32 s18, s11
	s_sub_co_i32 s19, 0, s11
	s_ashr_i32 s10, s10, 31
	s_delay_alu instid0(SALU_CYCLE_1) | instskip(SKIP_1) | instid1(TRANS32_DEP_1)
	v_rcp_iflag_f32_e32 v1, s18
	v_nop
	v_readfirstlane_b32 s18, v1
	s_mul_f32 s18, s18, 0x4f7ffffe
	s_delay_alu instid0(SALU_CYCLE_3) | instskip(NEXT) | instid1(SALU_CYCLE_3)
	s_cvt_u32_f32 s18, s18
	s_mul_i32 s19, s19, s18
	s_delay_alu instid0(SALU_CYCLE_1) | instskip(NEXT) | instid1(SALU_CYCLE_1)
	s_mul_hi_u32 s19, s18, s19
	s_add_co_i32 s18, s18, s19
	s_delay_alu instid0(SALU_CYCLE_1) | instskip(NEXT) | instid1(SALU_CYCLE_1)
	s_mul_hi_u32 s18, s20, s18
	s_mul_i32 s18, s18, s11
	s_delay_alu instid0(SALU_CYCLE_1) | instskip(NEXT) | instid1(SALU_CYCLE_1)
	s_sub_co_i32 s18, s20, s18
	s_sub_co_i32 s19, s18, s11
	s_cmp_ge_u32 s18, s11
	s_cselect_b32 s18, s19, s18
	s_delay_alu instid0(SALU_CYCLE_1) | instskip(SKIP_2) | instid1(SALU_CYCLE_1)
	s_sub_co_i32 s19, s18, s11
	s_cmp_ge_u32 s18, s11
	s_cselect_b32 s11, s19, s18
	s_xor_b32 s11, s11, s10
	s_delay_alu instid0(SALU_CYCLE_1)
	s_sub_co_i32 s10, s11, s10
.LBB0_3:
	s_bfe_u32 s11, ttmp6, 0x4000c
	s_lshl_b32 s7, s7, 1
	s_add_co_i32 s11, s11, 1
	s_and_b32 s18, ttmp6, 15
	s_mul_i32 s11, ttmp9, s11
	s_add_co_i32 s7, s7, s6
	s_and_b32 s4, 0xffff, s4
	s_add_co_i32 s18, s18, s11
	s_cmp_eq_u32 s9, 0
	s_cselect_b32 s9, ttmp9, s18
	s_mul_i32 s18, s7, s5
	v_mad_u32 v1, s9, s4, v0
	s_ashr_i32 s19, s18, 31
	s_delay_alu instid0(SALU_CYCLE_1)
	s_mul_u64 s[20:21], s[18:19], s[2:3]
	s_mul_i32 s18, s6, s5
	s_lshl_b64 s[4:5], s[20:21], 2
	s_ashr_i32 s19, s18, 31
	s_add_nc_u64 s[16:17], s[16:17], s[4:5]
	s_mov_b32 s4, exec_lo
	s_delay_alu instid0(VALU_DEP_1) | instskip(NEXT) | instid1(VALU_DEP_1)
	v_lshlrev_b32_e32 v0, 2, v1
	v_cmpx_gt_i32_e64 s18, v0
	s_cbranch_execz .LBB0_5
; %bb.4:
	global_load_b128 v[2:5], v1, s[16:17] scale_offset
	s_load_b64 s[6:7], s[0:1], 0x8
	s_mul_u64 s[2:3], s[18:19], s[2:3]
	s_delay_alu instid0(SALU_CYCLE_1)
	s_lshl_b64 s[2:3], s[2:3], 2
	s_wait_kmcnt 0x0
	s_add_nc_u64 s[2:3], s[6:7], s[2:3]
	s_wait_loadcnt 0x0
	global_store_b128 v1, v[2:5], s[2:3] scale_offset
.LBB0_5:
	s_wait_xcnt 0x0
	s_or_b32 exec_lo, exec_lo, s4
	s_load_b64 s[2:3], s[0:1], 0x58
	s_mov_b32 s4, exec_lo
	s_wait_kmcnt 0x0
	v_cmpx_gt_i32_e64 s2, v0
	s_cbranch_execz .LBB0_25
; %bb.6:
	s_clause 0x1
	s_load_b64 s[20:21], s[0:1], 0x48
	s_load_b128 s[4:7], s[0:1], 0x10
	s_lshl_b64 s[22:23], s[12:13], 3
	s_cmp_lg_u32 s3, 0
	s_wait_xcnt 0x0
	s_load_b64 s[0:1], s[0:1], 0x60
	s_mov_b32 s24, s2
	v_ashrrev_i32_e32 v1, 31, v0
	s_wait_kmcnt 0x0
	s_add_nc_u64 s[14:15], s[20:21], s[14:15]
	s_load_b32 s20, s[14:15], 0x0
	s_wait_xcnt 0x0
	s_cselect_b32 s14, -1, 0
	s_ashr_i32 s9, s8, 31
	s_ashr_i32 s25, s2, 31
	;; [unrolled: 1-line block ×3, first 2 shown]
	s_add_nc_u64 s[0:1], s[0:1], s[22:23]
	s_load_b64 s[0:1], s[0:1], 0x0
	s_wait_kmcnt 0x0
	s_ashr_i32 s21, s20, 31
	s_cmp_eq_u32 s3, 0
	s_mul_u64 s[8:9], s[20:21], s[8:9]
	s_cselect_b32 s3, -1, 0
	s_add_nc_u64 s[8:9], s[8:9], s[10:11]
	s_and_b32 vcc_lo, s3, exec_lo
	s_cselect_b32 s3, 2, 1
	s_lshl_b64 s[12:13], s[18:19], 2
	s_mul_u64 s[8:9], s[8:9], s[24:25]
	s_add_nc_u64 s[12:13], s[16:17], s[12:13]
	s_add_nc_u64 s[0:1], s[8:9], s[0:1]
	global_load_b32 v2, v0, s[12:13] scale_offset
	s_lshl_b64 s[8:9], s[0:1], s3
	s_lshl_b64 s[10:11], s[24:25], 2
	s_add_nc_u64 s[0:1], s[4:5], s[8:9]
	s_add_nc_u64 s[4:5], s[6:7], s[8:9]
	;; [unrolled: 1-line block ×3, first 2 shown]
	s_mov_b32 s3, -1
	s_cbranch_vccnz .LBB0_8
; %bb.7:
	v_lshl_add_u64 v[4:5], v[0:1], 2, s[6:7]
	s_wait_loadcnt 0x0
	v_cvt_pk_bf16_f32 v8, v2, s0
	s_mov_b32 s3, 0
	global_load_b32 v3, v[4:5], off
	s_wait_xcnt 0x0
	v_lshlrev_b64_e32 v[4:5], 1, v[0:1]
	s_delay_alu instid0(VALU_DEP_1)
	v_add_nc_u64_e32 v[6:7], s[0:1], v[4:5]
	v_add_nc_u64_e32 v[4:5], s[4:5], v[4:5]
	global_store_b16 v[6:7], v8, off
	s_wait_loadcnt 0x0
	v_cvt_pk_bf16_f32 v3, v3, s0
	global_store_b16 v[4:5], v3, off
.LBB0_8:
	s_and_not1_b32 vcc_lo, exec_lo, s3
	s_cbranch_vccnz .LBB0_10
; %bb.9:
	s_wait_xcnt 0x0
	v_lshlrev_b64_e32 v[4:5], 2, v[0:1]
	s_delay_alu instid0(VALU_DEP_1)
	v_add_nc_u64_e32 v[6:7], s[6:7], v[4:5]
	global_load_b32 v3, v[6:7], off
	s_wait_xcnt 0x0
	v_add_nc_u64_e32 v[6:7], s[0:1], v[4:5]
	v_add_nc_u64_e32 v[4:5], s[4:5], v[4:5]
	s_wait_loadcnt 0x1
	global_store_b32 v[6:7], v2, off
	s_wait_loadcnt 0x0
	global_store_b32 v[4:5], v3, off
.LBB0_10:
	s_wait_xcnt 0x0
	v_or_b32_e32 v4, 1, v0
	s_wait_loadcnt 0x0
	v_lshl_add_u64 v[2:3], v[0:1], 2, s[12:13]
	s_delay_alu instid0(VALU_DEP_2)
	v_cmp_gt_i32_e32 vcc_lo, s2, v4
	v_cndmask_b32_e64 v4, 0, 1, s14
	s_and_saveexec_b32 s3, vcc_lo
	s_cbranch_execz .LBB0_15
; %bb.11:
	global_load_b32 v5, v[2:3], off offset:4
	s_and_not1_b32 vcc_lo, exec_lo, s14
	s_mov_b32 s8, -1
	s_cbranch_vccnz .LBB0_13
; %bb.12:
	v_lshl_add_u64 v[6:7], v[0:1], 2, s[6:7]
	s_wait_loadcnt 0x0
	v_cvt_pk_bf16_f32 v11, v5, s0
	s_mov_b32 s8, 0
	global_load_b32 v10, v[6:7], off offset:4
	s_wait_xcnt 0x0
	v_lshlrev_b64_e32 v[6:7], 1, v[0:1]
	s_delay_alu instid0(VALU_DEP_1)
	v_add_nc_u64_e32 v[8:9], s[0:1], v[6:7]
	v_add_nc_u64_e32 v[6:7], s[4:5], v[6:7]
	global_store_b16 v[8:9], v11, off offset:2
	s_wait_loadcnt 0x0
	v_cvt_pk_bf16_f32 v10, v10, s0
	global_store_b16 v[6:7], v10, off offset:2
.LBB0_13:
	s_and_not1_b32 vcc_lo, exec_lo, s8
	s_cbranch_vccnz .LBB0_15
; %bb.14:
	s_wait_xcnt 0x0
	v_lshlrev_b64_e32 v[6:7], 2, v[0:1]
	s_delay_alu instid0(VALU_DEP_1)
	v_add_nc_u64_e32 v[8:9], s[6:7], v[6:7]
	global_load_b32 v10, v[8:9], off offset:4
	s_wait_xcnt 0x0
	v_add_nc_u64_e32 v[8:9], s[0:1], v[6:7]
	v_add_nc_u64_e32 v[6:7], s[4:5], v[6:7]
	s_wait_loadcnt 0x1
	global_store_b32 v[8:9], v5, off offset:4
	s_wait_loadcnt 0x0
	global_store_b32 v[6:7], v10, off offset:4
.LBB0_15:
	s_wait_xcnt 0x0
	s_or_b32 exec_lo, exec_lo, s3
	s_wait_loadcnt 0x0
	v_or_b32_e32 v5, 2, v0
	s_mov_b32 s3, exec_lo
	s_delay_alu instid0(VALU_DEP_1)
	v_cmpx_gt_i32_e64 s2, v5
	s_cbranch_execz .LBB0_20
; %bb.16:
	global_load_b32 v5, v[2:3], off offset:8
	v_cmp_ne_u32_e32 vcc_lo, 1, v4
	s_mov_b32 s8, -1
	s_cbranch_vccnz .LBB0_18
; %bb.17:
	v_lshl_add_u64 v[6:7], v[0:1], 2, s[6:7]
	s_wait_loadcnt 0x0
	v_cvt_pk_bf16_f32 v11, v5, s0
	s_mov_b32 s8, 0
	global_load_b32 v10, v[6:7], off offset:8
	s_wait_xcnt 0x0
	v_lshlrev_b64_e32 v[6:7], 1, v[0:1]
	s_delay_alu instid0(VALU_DEP_1)
	v_add_nc_u64_e32 v[8:9], s[0:1], v[6:7]
	v_add_nc_u64_e32 v[6:7], s[4:5], v[6:7]
	global_store_b16 v[8:9], v11, off offset:4
	s_wait_loadcnt 0x0
	v_cvt_pk_bf16_f32 v10, v10, s0
	global_store_b16 v[6:7], v10, off offset:4
.LBB0_18:
	s_and_not1_b32 vcc_lo, exec_lo, s8
	s_cbranch_vccnz .LBB0_20
; %bb.19:
	s_wait_xcnt 0x0
	v_lshlrev_b64_e32 v[6:7], 2, v[0:1]
	s_delay_alu instid0(VALU_DEP_1)
	v_add_nc_u64_e32 v[8:9], s[6:7], v[6:7]
	global_load_b32 v10, v[8:9], off offset:8
	s_wait_xcnt 0x0
	v_add_nc_u64_e32 v[8:9], s[0:1], v[6:7]
	v_add_nc_u64_e32 v[6:7], s[4:5], v[6:7]
	s_wait_loadcnt 0x1
	global_store_b32 v[8:9], v5, off offset:8
	s_wait_loadcnt 0x0
	global_store_b32 v[6:7], v10, off offset:8
.LBB0_20:
	s_wait_xcnt 0x0
	s_or_b32 exec_lo, exec_lo, s3
	s_wait_loadcnt 0x0
	v_or_b32_e32 v5, 3, v0
	s_delay_alu instid0(VALU_DEP_1)
	v_cmp_gt_i32_e32 vcc_lo, s2, v5
	s_and_b32 exec_lo, exec_lo, vcc_lo
	s_cbranch_execz .LBB0_25
; %bb.21:
	global_load_b32 v2, v[2:3], off offset:12
	v_cmp_ne_u32_e32 vcc_lo, 1, v4
	s_mov_b32 s2, -1
	s_cbranch_vccnz .LBB0_23
; %bb.22:
	v_lshl_add_u64 v[4:5], v[0:1], 2, s[6:7]
	s_wait_loadcnt 0x0
	v_cvt_pk_bf16_f32 v8, v2, s0
	s_mov_b32 s2, 0
	global_load_b32 v3, v[4:5], off offset:12
	s_wait_xcnt 0x0
	v_lshlrev_b64_e32 v[4:5], 1, v[0:1]
	s_delay_alu instid0(VALU_DEP_1)
	v_add_nc_u64_e32 v[6:7], s[0:1], v[4:5]
	v_add_nc_u64_e32 v[4:5], s[4:5], v[4:5]
	global_store_b16 v[6:7], v8, off offset:6
	s_wait_loadcnt 0x0
	v_cvt_pk_bf16_f32 v3, v3, s0
	global_store_b16 v[4:5], v3, off offset:6
.LBB0_23:
	s_and_not1_b32 vcc_lo, exec_lo, s2
	s_cbranch_vccnz .LBB0_25
; %bb.24:
	v_lshlrev_b64_e32 v[0:1], 2, v[0:1]
	s_wait_xcnt 0x0
	s_delay_alu instid0(VALU_DEP_1)
	v_add_nc_u64_e32 v[4:5], s[6:7], v[0:1]
	global_load_b32 v3, v[4:5], off offset:12
	s_wait_xcnt 0x0
	v_add_nc_u64_e32 v[4:5], s[0:1], v[0:1]
	v_add_nc_u64_e32 v[0:1], s[4:5], v[0:1]
	s_wait_loadcnt 0x1
	global_store_b32 v[4:5], v2, off offset:12
	s_wait_loadcnt 0x0
	global_store_b32 v[0:1], v3, off offset:12
.LBB0_25:
	s_endpgm
	.section	.rodata,"a",@progbits
	.p2align	6, 0x0
	.amdhsa_kernel _Z16split_qkv_kernelILi4EEvPKfPfPvS3_iiiiiPKiiS5_xiiPKxS5_S5_
		.amdhsa_group_segment_fixed_size 0
		.amdhsa_private_segment_fixed_size 0
		.amdhsa_kernarg_size 376
		.amdhsa_user_sgpr_count 2
		.amdhsa_user_sgpr_dispatch_ptr 0
		.amdhsa_user_sgpr_queue_ptr 0
		.amdhsa_user_sgpr_kernarg_segment_ptr 1
		.amdhsa_user_sgpr_dispatch_id 0
		.amdhsa_user_sgpr_kernarg_preload_length 0
		.amdhsa_user_sgpr_kernarg_preload_offset 0
		.amdhsa_user_sgpr_private_segment_size 0
		.amdhsa_wavefront_size32 1
		.amdhsa_uses_dynamic_stack 0
		.amdhsa_enable_private_segment 0
		.amdhsa_system_sgpr_workgroup_id_x 1
		.amdhsa_system_sgpr_workgroup_id_y 1
		.amdhsa_system_sgpr_workgroup_id_z 0
		.amdhsa_system_sgpr_workgroup_info 0
		.amdhsa_system_vgpr_workitem_id 0
		.amdhsa_next_free_vgpr 12
		.amdhsa_next_free_sgpr 26
		.amdhsa_named_barrier_count 0
		.amdhsa_reserve_vcc 1
		.amdhsa_float_round_mode_32 0
		.amdhsa_float_round_mode_16_64 0
		.amdhsa_float_denorm_mode_32 3
		.amdhsa_float_denorm_mode_16_64 3
		.amdhsa_fp16_overflow 0
		.amdhsa_memory_ordered 1
		.amdhsa_forward_progress 1
		.amdhsa_inst_pref_size 13
		.amdhsa_round_robin_scheduling 0
		.amdhsa_exception_fp_ieee_invalid_op 0
		.amdhsa_exception_fp_denorm_src 0
		.amdhsa_exception_fp_ieee_div_zero 0
		.amdhsa_exception_fp_ieee_overflow 0
		.amdhsa_exception_fp_ieee_underflow 0
		.amdhsa_exception_fp_ieee_inexact 0
		.amdhsa_exception_int_div_zero 0
	.end_amdhsa_kernel
	.section	.text._Z16split_qkv_kernelILi4EEvPKfPfPvS3_iiiiiPKiiS5_xiiPKxS5_S5_,"axG",@progbits,_Z16split_qkv_kernelILi4EEvPKfPfPvS3_iiiiiPKiiS5_xiiPKxS5_S5_,comdat
.Lfunc_end0:
	.size	_Z16split_qkv_kernelILi4EEvPKfPfPvS3_iiiiiPKiiS5_xiiPKxS5_S5_, .Lfunc_end0-_Z16split_qkv_kernelILi4EEvPKfPfPvS3_iiiiiPKiiS5_xiiPKxS5_S5_
                                        ; -- End function
	.set _Z16split_qkv_kernelILi4EEvPKfPfPvS3_iiiiiPKiiS5_xiiPKxS5_S5_.num_vgpr, 12
	.set _Z16split_qkv_kernelILi4EEvPKfPfPvS3_iiiiiPKiiS5_xiiPKxS5_S5_.num_agpr, 0
	.set _Z16split_qkv_kernelILi4EEvPKfPfPvS3_iiiiiPKiiS5_xiiPKxS5_S5_.numbered_sgpr, 26
	.set _Z16split_qkv_kernelILi4EEvPKfPfPvS3_iiiiiPKiiS5_xiiPKxS5_S5_.num_named_barrier, 0
	.set _Z16split_qkv_kernelILi4EEvPKfPfPvS3_iiiiiPKiiS5_xiiPKxS5_S5_.private_seg_size, 0
	.set _Z16split_qkv_kernelILi4EEvPKfPfPvS3_iiiiiPKiiS5_xiiPKxS5_S5_.uses_vcc, 1
	.set _Z16split_qkv_kernelILi4EEvPKfPfPvS3_iiiiiPKiiS5_xiiPKxS5_S5_.uses_flat_scratch, 0
	.set _Z16split_qkv_kernelILi4EEvPKfPfPvS3_iiiiiPKiiS5_xiiPKxS5_S5_.has_dyn_sized_stack, 0
	.set _Z16split_qkv_kernelILi4EEvPKfPfPvS3_iiiiiPKiiS5_xiiPKxS5_S5_.has_recursion, 0
	.set _Z16split_qkv_kernelILi4EEvPKfPfPvS3_iiiiiPKiiS5_xiiPKxS5_S5_.has_indirect_call, 0
	.section	.AMDGPU.csdata,"",@progbits
; Kernel info:
; codeLenInByte = 1576
; TotalNumSgprs: 28
; NumVgprs: 12
; ScratchSize: 0
; MemoryBound: 0
; FloatMode: 240
; IeeeMode: 1
; LDSByteSize: 0 bytes/workgroup (compile time only)
; SGPRBlocks: 0
; VGPRBlocks: 0
; NumSGPRsForWavesPerEU: 28
; NumVGPRsForWavesPerEU: 12
; NamedBarCnt: 0
; Occupancy: 16
; WaveLimiterHint : 1
; COMPUTE_PGM_RSRC2:SCRATCH_EN: 0
; COMPUTE_PGM_RSRC2:USER_SGPR: 2
; COMPUTE_PGM_RSRC2:TRAP_HANDLER: 0
; COMPUTE_PGM_RSRC2:TGID_X_EN: 1
; COMPUTE_PGM_RSRC2:TGID_Y_EN: 1
; COMPUTE_PGM_RSRC2:TGID_Z_EN: 0
; COMPUTE_PGM_RSRC2:TIDIG_COMP_CNT: 0
	.section	.text._Z16split_qkv_kernelILi1EEvPKfPfPvS3_iiiiiPKiiS5_xiiPKxS5_S5_,"axG",@progbits,_Z16split_qkv_kernelILi1EEvPKfPfPvS3_iiiiiPKiiS5_xiiPKxS5_S5_,comdat
	.protected	_Z16split_qkv_kernelILi1EEvPKfPfPvS3_iiiiiPKiiS5_xiiPKxS5_S5_ ; -- Begin function _Z16split_qkv_kernelILi1EEvPKfPfPvS3_iiiiiPKiiS5_xiiPKxS5_S5_
	.globl	_Z16split_qkv_kernelILi1EEvPKfPfPvS3_iiiiiPKiiS5_xiiPKxS5_S5_
	.p2align	8
	.type	_Z16split_qkv_kernelILi1EEvPKfPfPvS3_iiiiiPKiiS5_xiiPKxS5_S5_,@function
_Z16split_qkv_kernelILi1EEvPKfPfPvS3_iiiiiPKiiS5_xiiPKxS5_S5_: ; @_Z16split_qkv_kernelILi1EEvPKfPfPvS3_iiiiiPKiiS5_xiiPKxS5_S5_
; %bb.0:
	s_load_b128 s[4:7], s[0:1], 0x20
	s_bfe_u32 s2, ttmp6, 0x40010
	s_bfe_u32 s3, ttmp6, 0x40004
	s_add_co_i32 s2, s2, 1
	s_getreg_b32 s11, hwreg(HW_REG_IB_STS2, 6, 4)
	s_mul_i32 s2, ttmp7, s2
	s_delay_alu instid0(SALU_CYCLE_1)
	s_add_co_i32 s3, s3, s2
	s_cmp_eq_u32 s11, 0
	s_cselect_b32 s12, ttmp7, s3
	s_wait_kmcnt 0x0
	s_cmp_ge_i32 s12, s4
	s_cbranch_scc1 .LBB1_10
; %bb.1:
	s_clause 0x3
	s_load_b32 s2, s[0:1], 0x30
	s_load_b128 s[20:23], s[0:1], 0x68
	s_load_b64 s[18:19], s[0:1], 0x38
	s_load_b64 s[14:15], s[0:1], 0x0
	s_ashr_i32 s13, s12, 31
	s_load_b32 s16, s[0:1], 0x84
	s_wait_kmcnt 0x0
	s_ashr_i32 s3, s2, 31
	s_delay_alu instid0(SALU_CYCLE_1) | instskip(NEXT) | instid1(SALU_CYCLE_1)
	s_lshl_b64 s[8:9], s[2:3], 2
	s_add_nc_u64 s[22:23], s[22:23], s[8:9]
	s_add_nc_u64 s[20:21], s[20:21], s[8:9]
	s_lshl_b64 s[8:9], s[12:13], 2
	s_load_b32 s17, s[22:23], 0x0
	s_add_nc_u64 s[18:19], s[18:19], s[8:9]
	s_load_b32 s4, s[20:21], 0x0
	s_load_b32 s10, s[18:19], 0x0
	s_wait_kmcnt 0x0
	s_cmp_eq_u32 s17, 0
	s_cbranch_scc1 .LBB1_3
; %bb.2:
	s_abs_i32 s17, s4
	s_abs_i32 s20, s10
	s_cvt_f32_u32 s18, s17
	s_sub_co_i32 s19, 0, s17
	s_ashr_i32 s10, s10, 31
	s_delay_alu instid0(SALU_CYCLE_1) | instskip(SKIP_1) | instid1(TRANS32_DEP_1)
	v_rcp_iflag_f32_e32 v1, s18
	v_nop
	v_readfirstlane_b32 s18, v1
	s_mul_f32 s18, s18, 0x4f7ffffe
	s_delay_alu instid0(SALU_CYCLE_3) | instskip(NEXT) | instid1(SALU_CYCLE_3)
	s_cvt_u32_f32 s18, s18
	s_mul_i32 s19, s19, s18
	s_delay_alu instid0(SALU_CYCLE_1) | instskip(NEXT) | instid1(SALU_CYCLE_1)
	s_mul_hi_u32 s19, s18, s19
	s_add_co_i32 s18, s18, s19
	s_delay_alu instid0(SALU_CYCLE_1) | instskip(NEXT) | instid1(SALU_CYCLE_1)
	s_mul_hi_u32 s18, s20, s18
	s_mul_i32 s18, s18, s17
	s_delay_alu instid0(SALU_CYCLE_1) | instskip(NEXT) | instid1(SALU_CYCLE_1)
	s_sub_co_i32 s18, s20, s18
	s_sub_co_i32 s19, s18, s17
	s_cmp_ge_u32 s18, s17
	s_cselect_b32 s18, s19, s18
	s_delay_alu instid0(SALU_CYCLE_1) | instskip(SKIP_2) | instid1(SALU_CYCLE_1)
	s_sub_co_i32 s19, s18, s17
	s_cmp_ge_u32 s18, s17
	s_cselect_b32 s17, s19, s18
	s_xor_b32 s17, s17, s10
	s_delay_alu instid0(SALU_CYCLE_1)
	s_sub_co_i32 s10, s17, s10
.LBB1_3:
	s_bfe_u32 s17, ttmp6, 0x4000c
	s_lshl_b32 s7, s7, 1
	s_add_co_i32 s17, s17, 1
	s_and_b32 s18, ttmp6, 15
	s_mul_i32 s17, ttmp9, s17
	s_add_co_i32 s7, s7, s6
	s_and_b32 s16, 0xffff, s16
	s_add_co_i32 s18, s18, s17
	s_cmp_eq_u32 s11, 0
	s_cselect_b32 s11, ttmp9, s18
	s_delay_alu instid0(SALU_CYCLE_1) | instskip(SKIP_1) | instid1(SALU_CYCLE_1)
	v_mad_u32 v0, s11, s16, v0
	s_mul_i32 s16, s7, s5
	s_ashr_i32 s17, s16, 31
	s_delay_alu instid0(SALU_CYCLE_1)
	s_mul_u64 s[18:19], s[16:17], s[12:13]
	s_mul_i32 s16, s6, s5
	s_lshl_b64 s[6:7], s[18:19], 2
	s_ashr_i32 s17, s16, 31
	s_add_nc_u64 s[14:15], s[14:15], s[6:7]
	s_mov_b32 s5, exec_lo
	s_delay_alu instid0(VALU_DEP_1)
	v_cmpx_gt_i32_e64 s16, v0
	s_cbranch_execz .LBB1_5
; %bb.4:
	global_load_b32 v1, v0, s[14:15] scale_offset
	s_load_b64 s[6:7], s[0:1], 0x8
	s_mul_u64 s[12:13], s[16:17], s[12:13]
	s_delay_alu instid0(SALU_CYCLE_1)
	s_lshl_b64 s[12:13], s[12:13], 2
	s_wait_kmcnt 0x0
	s_add_nc_u64 s[6:7], s[6:7], s[12:13]
	s_wait_loadcnt 0x0
	global_store_b32 v0, v1, s[6:7] scale_offset
.LBB1_5:
	s_wait_xcnt 0x0
	s_or_b32 exec_lo, exec_lo, s5
	s_load_b64 s[6:7], s[0:1], 0x58
	s_mov_b32 s5, exec_lo
	s_wait_kmcnt 0x0
	v_cmpx_gt_i32_e64 s6, v0
	s_cbranch_execz .LBB1_10
; %bb.6:
	s_lshl_b64 s[12:13], s[16:17], 2
	s_lshl_b64 s[2:3], s[2:3], 3
	s_add_nc_u64 s[16:17], s[14:15], s[12:13]
	v_ashrrev_i32_e32 v1, 31, v0
	global_load_b32 v6, v0, s[16:17] scale_offset
	s_clause 0x2
	s_load_b64 s[18:19], s[0:1], 0x48
	s_load_b64 s[20:21], s[0:1], 0x60
	s_load_b128 s[12:15], s[0:1], 0x10
	s_ashr_i32 s5, s4, 31
	s_ashr_i32 s11, s10, 31
	v_lshlrev_b64_e32 v[2:3], 2, v[0:1]
	s_wait_kmcnt 0x0
	s_add_nc_u64 s[0:1], s[18:19], s[8:9]
	s_add_nc_u64 s[2:3], s[20:21], s[2:3]
	s_load_b32 s0, s[0:1], 0x0
	s_ashr_i32 s9, s6, 31
	s_load_b64 s[2:3], s[2:3], 0x0
	s_mov_b32 s8, s6
	s_wait_kmcnt 0x0
	s_ashr_i32 s1, s0, 31
	s_delay_alu instid0(SALU_CYCLE_1)
	s_mul_u64 s[0:1], s[0:1], s[4:5]
	s_lshl_b64 s[4:5], s[8:9], 2
	s_add_nc_u64 s[0:1], s[0:1], s[10:11]
	s_cmp_eq_u32 s7, 0
	s_mul_u64 s[0:1], s[0:1], s[8:9]
	s_cselect_b32 s6, -1, 0
	s_add_nc_u64 s[0:1], s[0:1], s[2:3]
	s_add_nc_u64 s[2:3], s[16:17], s[4:5]
	s_and_b32 vcc_lo, s6, exec_lo
	v_add_nc_u64_e32 v[4:5], s[2:3], v[2:3]
	s_cselect_b32 s6, 2, 1
	s_delay_alu instid0(SALU_CYCLE_1) | instskip(NEXT) | instid1(SALU_CYCLE_1)
	s_lshl_b64 s[4:5], s[0:1], s6
	s_add_nc_u64 s[0:1], s[14:15], s[4:5]
	s_add_nc_u64 s[2:3], s[12:13], s[4:5]
	s_mov_b32 s4, -1
	s_cbranch_vccnz .LBB1_8
; %bb.7:
	global_load_b32 v7, v[4:5], off
	v_lshlrev_b64_e32 v[0:1], 1, v[0:1]
	s_wait_loadcnt 0x1
	v_cvt_pk_bf16_f32 v10, v6, s0
	s_mov_b32 s4, 0
	s_delay_alu instid0(VALU_DEP_2)
	v_add_nc_u64_e32 v[8:9], s[2:3], v[0:1]
	v_add_nc_u64_e32 v[0:1], s[0:1], v[0:1]
	global_store_b16 v[8:9], v10, off
	s_wait_loadcnt 0x0
	v_cvt_pk_bf16_f32 v7, v7, s0
	global_store_b16 v[0:1], v7, off
.LBB1_8:
	s_and_not1_b32 vcc_lo, exec_lo, s4
	s_cbranch_vccnz .LBB1_10
; %bb.9:
	global_load_b32 v4, v[4:5], off
	s_wait_xcnt 0x1
	v_add_nc_u64_e32 v[0:1], s[2:3], v[2:3]
	v_add_nc_u64_e32 v[2:3], s[0:1], v[2:3]
	s_wait_loadcnt 0x1
	global_store_b32 v[0:1], v6, off
	s_wait_loadcnt 0x0
	global_store_b32 v[2:3], v4, off
.LBB1_10:
	s_endpgm
	.section	.rodata,"a",@progbits
	.p2align	6, 0x0
	.amdhsa_kernel _Z16split_qkv_kernelILi1EEvPKfPfPvS3_iiiiiPKiiS5_xiiPKxS5_S5_
		.amdhsa_group_segment_fixed_size 0
		.amdhsa_private_segment_fixed_size 0
		.amdhsa_kernarg_size 376
		.amdhsa_user_sgpr_count 2
		.amdhsa_user_sgpr_dispatch_ptr 0
		.amdhsa_user_sgpr_queue_ptr 0
		.amdhsa_user_sgpr_kernarg_segment_ptr 1
		.amdhsa_user_sgpr_dispatch_id 0
		.amdhsa_user_sgpr_kernarg_preload_length 0
		.amdhsa_user_sgpr_kernarg_preload_offset 0
		.amdhsa_user_sgpr_private_segment_size 0
		.amdhsa_wavefront_size32 1
		.amdhsa_uses_dynamic_stack 0
		.amdhsa_enable_private_segment 0
		.amdhsa_system_sgpr_workgroup_id_x 1
		.amdhsa_system_sgpr_workgroup_id_y 1
		.amdhsa_system_sgpr_workgroup_id_z 0
		.amdhsa_system_sgpr_workgroup_info 0
		.amdhsa_system_vgpr_workitem_id 0
		.amdhsa_next_free_vgpr 11
		.amdhsa_next_free_sgpr 24
		.amdhsa_named_barrier_count 0
		.amdhsa_reserve_vcc 1
		.amdhsa_float_round_mode_32 0
		.amdhsa_float_round_mode_16_64 0
		.amdhsa_float_denorm_mode_32 3
		.amdhsa_float_denorm_mode_16_64 3
		.amdhsa_fp16_overflow 0
		.amdhsa_memory_ordered 1
		.amdhsa_forward_progress 1
		.amdhsa_inst_pref_size 7
		.amdhsa_round_robin_scheduling 0
		.amdhsa_exception_fp_ieee_invalid_op 0
		.amdhsa_exception_fp_denorm_src 0
		.amdhsa_exception_fp_ieee_div_zero 0
		.amdhsa_exception_fp_ieee_overflow 0
		.amdhsa_exception_fp_ieee_underflow 0
		.amdhsa_exception_fp_ieee_inexact 0
		.amdhsa_exception_int_div_zero 0
	.end_amdhsa_kernel
	.section	.text._Z16split_qkv_kernelILi1EEvPKfPfPvS3_iiiiiPKiiS5_xiiPKxS5_S5_,"axG",@progbits,_Z16split_qkv_kernelILi1EEvPKfPfPvS3_iiiiiPKiiS5_xiiPKxS5_S5_,comdat
.Lfunc_end1:
	.size	_Z16split_qkv_kernelILi1EEvPKfPfPvS3_iiiiiPKiiS5_xiiPKxS5_S5_, .Lfunc_end1-_Z16split_qkv_kernelILi1EEvPKfPfPvS3_iiiiiPKiiS5_xiiPKxS5_S5_
                                        ; -- End function
	.set _Z16split_qkv_kernelILi1EEvPKfPfPvS3_iiiiiPKiiS5_xiiPKxS5_S5_.num_vgpr, 11
	.set _Z16split_qkv_kernelILi1EEvPKfPfPvS3_iiiiiPKiiS5_xiiPKxS5_S5_.num_agpr, 0
	.set _Z16split_qkv_kernelILi1EEvPKfPfPvS3_iiiiiPKiiS5_xiiPKxS5_S5_.numbered_sgpr, 24
	.set _Z16split_qkv_kernelILi1EEvPKfPfPvS3_iiiiiPKiiS5_xiiPKxS5_S5_.num_named_barrier, 0
	.set _Z16split_qkv_kernelILi1EEvPKfPfPvS3_iiiiiPKiiS5_xiiPKxS5_S5_.private_seg_size, 0
	.set _Z16split_qkv_kernelILi1EEvPKfPfPvS3_iiiiiPKiiS5_xiiPKxS5_S5_.uses_vcc, 1
	.set _Z16split_qkv_kernelILi1EEvPKfPfPvS3_iiiiiPKiiS5_xiiPKxS5_S5_.uses_flat_scratch, 0
	.set _Z16split_qkv_kernelILi1EEvPKfPfPvS3_iiiiiPKiiS5_xiiPKxS5_S5_.has_dyn_sized_stack, 0
	.set _Z16split_qkv_kernelILi1EEvPKfPfPvS3_iiiiiPKiiS5_xiiPKxS5_S5_.has_recursion, 0
	.set _Z16split_qkv_kernelILi1EEvPKfPfPvS3_iiiiiPKiiS5_xiiPKxS5_S5_.has_indirect_call, 0
	.section	.AMDGPU.csdata,"",@progbits
; Kernel info:
; codeLenInByte = 844
; TotalNumSgprs: 26
; NumVgprs: 11
; ScratchSize: 0
; MemoryBound: 0
; FloatMode: 240
; IeeeMode: 1
; LDSByteSize: 0 bytes/workgroup (compile time only)
; SGPRBlocks: 0
; VGPRBlocks: 0
; NumSGPRsForWavesPerEU: 26
; NumVGPRsForWavesPerEU: 11
; NamedBarCnt: 0
; Occupancy: 16
; WaveLimiterHint : 1
; COMPUTE_PGM_RSRC2:SCRATCH_EN: 0
; COMPUTE_PGM_RSRC2:USER_SGPR: 2
; COMPUTE_PGM_RSRC2:TRAP_HANDLER: 0
; COMPUTE_PGM_RSRC2:TGID_X_EN: 1
; COMPUTE_PGM_RSRC2:TGID_Y_EN: 1
; COMPUTE_PGM_RSRC2:TGID_Z_EN: 0
; COMPUTE_PGM_RSRC2:TIDIG_COMP_CNT: 0
	.section	.AMDGPU.gpr_maximums,"",@progbits
	.set amdgpu.max_num_vgpr, 0
	.set amdgpu.max_num_agpr, 0
	.set amdgpu.max_num_sgpr, 0
	.section	.AMDGPU.csdata,"",@progbits
	.type	__hip_cuid_e71c63d8847b6813,@object ; @__hip_cuid_e71c63d8847b6813
	.section	.bss,"aw",@nobits
	.globl	__hip_cuid_e71c63d8847b6813
__hip_cuid_e71c63d8847b6813:
	.byte	0                               ; 0x0
	.size	__hip_cuid_e71c63d8847b6813, 1

	.ident	"AMD clang version 22.0.0git (https://github.com/RadeonOpenCompute/llvm-project roc-7.2.4 26084 f58b06dce1f9c15707c5f808fd002e18c2accf7e)"
	.section	".note.GNU-stack","",@progbits
	.addrsig
	.addrsig_sym __hip_cuid_e71c63d8847b6813
	.amdgpu_metadata
---
amdhsa.kernels:
  - .args:
      - .actual_access:  read_only
        .address_space:  global
        .offset:         0
        .size:           8
        .value_kind:     global_buffer
      - .actual_access:  write_only
        .address_space:  global
        .offset:         8
        .size:           8
        .value_kind:     global_buffer
      - .actual_access:  write_only
        .address_space:  global
        .offset:         16
        .size:           8
        .value_kind:     global_buffer
      - .actual_access:  write_only
        .address_space:  global
        .offset:         24
        .size:           8
        .value_kind:     global_buffer
      - .offset:         32
        .size:           4
        .value_kind:     by_value
      - .offset:         36
        .size:           4
        .value_kind:     by_value
      - .offset:         40
        .size:           4
        .value_kind:     by_value
      - .offset:         44
        .size:           4
        .value_kind:     by_value
      - .offset:         48
        .size:           4
        .value_kind:     by_value
      - .actual_access:  read_only
        .address_space:  global
        .offset:         56
        .size:           8
        .value_kind:     global_buffer
      - .offset:         64
        .size:           4
        .value_kind:     by_value
      - .actual_access:  read_only
        .address_space:  global
        .offset:         72
        .size:           8
        .value_kind:     global_buffer
      - .offset:         80
        .size:           8
        .value_kind:     by_value
      - .offset:         88
        .size:           4
        .value_kind:     by_value
      - .offset:         92
        .size:           4
        .value_kind:     by_value
      - .actual_access:  read_only
        .address_space:  global
        .offset:         96
        .size:           8
        .value_kind:     global_buffer
      - .actual_access:  read_only
        .address_space:  global
        .offset:         104
        .size:           8
        .value_kind:     global_buffer
      - .actual_access:  read_only
        .address_space:  global
        .offset:         112
        .size:           8
        .value_kind:     global_buffer
      - .offset:         120
        .size:           4
        .value_kind:     hidden_block_count_x
      - .offset:         124
        .size:           4
        .value_kind:     hidden_block_count_y
      - .offset:         128
        .size:           4
        .value_kind:     hidden_block_count_z
      - .offset:         132
        .size:           2
        .value_kind:     hidden_group_size_x
      - .offset:         134
        .size:           2
        .value_kind:     hidden_group_size_y
      - .offset:         136
        .size:           2
        .value_kind:     hidden_group_size_z
      - .offset:         138
        .size:           2
        .value_kind:     hidden_remainder_x
      - .offset:         140
        .size:           2
        .value_kind:     hidden_remainder_y
      - .offset:         142
        .size:           2
        .value_kind:     hidden_remainder_z
      - .offset:         160
        .size:           8
        .value_kind:     hidden_global_offset_x
      - .offset:         168
        .size:           8
        .value_kind:     hidden_global_offset_y
      - .offset:         176
        .size:           8
        .value_kind:     hidden_global_offset_z
      - .offset:         184
        .size:           2
        .value_kind:     hidden_grid_dims
    .group_segment_fixed_size: 0
    .kernarg_segment_align: 8
    .kernarg_segment_size: 376
    .language:       OpenCL C
    .language_version:
      - 2
      - 0
    .max_flat_workgroup_size: 1024
    .name:           _Z16split_qkv_kernelILi4EEvPKfPfPvS3_iiiiiPKiiS5_xiiPKxS5_S5_
    .private_segment_fixed_size: 0
    .sgpr_count:     28
    .sgpr_spill_count: 0
    .symbol:         _Z16split_qkv_kernelILi4EEvPKfPfPvS3_iiiiiPKiiS5_xiiPKxS5_S5_.kd
    .uniform_work_group_size: 1
    .uses_dynamic_stack: false
    .vgpr_count:     12
    .vgpr_spill_count: 0
    .wavefront_size: 32
  - .args:
      - .actual_access:  read_only
        .address_space:  global
        .offset:         0
        .size:           8
        .value_kind:     global_buffer
      - .actual_access:  write_only
        .address_space:  global
        .offset:         8
        .size:           8
        .value_kind:     global_buffer
      - .actual_access:  write_only
        .address_space:  global
        .offset:         16
        .size:           8
        .value_kind:     global_buffer
      - .actual_access:  write_only
        .address_space:  global
        .offset:         24
        .size:           8
        .value_kind:     global_buffer
      - .offset:         32
        .size:           4
        .value_kind:     by_value
      - .offset:         36
        .size:           4
        .value_kind:     by_value
      - .offset:         40
        .size:           4
        .value_kind:     by_value
      - .offset:         44
        .size:           4
        .value_kind:     by_value
      - .offset:         48
        .size:           4
        .value_kind:     by_value
      - .actual_access:  read_only
        .address_space:  global
        .offset:         56
        .size:           8
        .value_kind:     global_buffer
      - .offset:         64
        .size:           4
        .value_kind:     by_value
      - .actual_access:  read_only
        .address_space:  global
        .offset:         72
        .size:           8
        .value_kind:     global_buffer
      - .offset:         80
        .size:           8
        .value_kind:     by_value
      - .offset:         88
        .size:           4
        .value_kind:     by_value
      - .offset:         92
        .size:           4
        .value_kind:     by_value
      - .actual_access:  read_only
        .address_space:  global
        .offset:         96
        .size:           8
        .value_kind:     global_buffer
      - .actual_access:  read_only
        .address_space:  global
        .offset:         104
        .size:           8
        .value_kind:     global_buffer
      - .actual_access:  read_only
        .address_space:  global
        .offset:         112
        .size:           8
        .value_kind:     global_buffer
      - .offset:         120
        .size:           4
        .value_kind:     hidden_block_count_x
      - .offset:         124
        .size:           4
        .value_kind:     hidden_block_count_y
      - .offset:         128
        .size:           4
        .value_kind:     hidden_block_count_z
      - .offset:         132
        .size:           2
        .value_kind:     hidden_group_size_x
      - .offset:         134
        .size:           2
        .value_kind:     hidden_group_size_y
      - .offset:         136
        .size:           2
        .value_kind:     hidden_group_size_z
      - .offset:         138
        .size:           2
        .value_kind:     hidden_remainder_x
      - .offset:         140
        .size:           2
        .value_kind:     hidden_remainder_y
      - .offset:         142
        .size:           2
        .value_kind:     hidden_remainder_z
      - .offset:         160
        .size:           8
        .value_kind:     hidden_global_offset_x
      - .offset:         168
        .size:           8
        .value_kind:     hidden_global_offset_y
      - .offset:         176
        .size:           8
        .value_kind:     hidden_global_offset_z
      - .offset:         184
        .size:           2
        .value_kind:     hidden_grid_dims
    .group_segment_fixed_size: 0
    .kernarg_segment_align: 8
    .kernarg_segment_size: 376
    .language:       OpenCL C
    .language_version:
      - 2
      - 0
    .max_flat_workgroup_size: 1024
    .name:           _Z16split_qkv_kernelILi1EEvPKfPfPvS3_iiiiiPKiiS5_xiiPKxS5_S5_
    .private_segment_fixed_size: 0
    .sgpr_count:     26
    .sgpr_spill_count: 0
    .symbol:         _Z16split_qkv_kernelILi1EEvPKfPfPvS3_iiiiiPKiiS5_xiiPKxS5_S5_.kd
    .uniform_work_group_size: 1
    .uses_dynamic_stack: false
    .vgpr_count:     11
    .vgpr_spill_count: 0
    .wavefront_size: 32
amdhsa.target:   amdgcn-amd-amdhsa--gfx1250
amdhsa.version:
  - 1
  - 2
...

	.end_amdgpu_metadata
